;; amdgpu-corpus repo=ROCm/rocFFT kind=compiled arch=gfx950 opt=O3
	.text
	.amdgcn_target "amdgcn-amd-amdhsa--gfx950"
	.amdhsa_code_object_version 6
	.protected	fft_rtc_fwd_len1300_factors_10_10_13_wgs_130_tpt_130_dp_op_CI_CI_sbrr_dirReg ; -- Begin function fft_rtc_fwd_len1300_factors_10_10_13_wgs_130_tpt_130_dp_op_CI_CI_sbrr_dirReg
	.globl	fft_rtc_fwd_len1300_factors_10_10_13_wgs_130_tpt_130_dp_op_CI_CI_sbrr_dirReg
	.p2align	8
	.type	fft_rtc_fwd_len1300_factors_10_10_13_wgs_130_tpt_130_dp_op_CI_CI_sbrr_dirReg,@function
fft_rtc_fwd_len1300_factors_10_10_13_wgs_130_tpt_130_dp_op_CI_CI_sbrr_dirReg: ; @fft_rtc_fwd_len1300_factors_10_10_13_wgs_130_tpt_130_dp_op_CI_CI_sbrr_dirReg
; %bb.0:
	s_load_dwordx4 s[12:15], s[0:1], 0x18
	s_load_dwordx4 s[8:11], s[0:1], 0x0
	;; [unrolled: 1-line block ×3, first 2 shown]
	v_mul_u32_u24_e32 v1, 0x1f9, v0
	v_add_u32_sdwa v6, s2, v1 dst_sel:DWORD dst_unused:UNUSED_PAD src0_sel:DWORD src1_sel:WORD_1
	s_waitcnt lgkmcnt(0)
	s_load_dwordx2 s[18:19], s[12:13], 0x0
	s_load_dwordx2 s[16:17], s[14:15], 0x0
	v_mov_b32_e32 v2, 0
	v_cmp_lt_u64_e64 s[2:3], s[10:11], 2
	v_mov_b32_e32 v7, v2
	s_and_b64 vcc, exec, s[2:3]
	v_mov_b64_e32 v[4:5], 0
	s_cbranch_vccnz .LBB0_8
; %bb.1:
	s_load_dwordx2 s[2:3], s[0:1], 0x10
	s_add_u32 s20, s14, 8
	s_addc_u32 s21, s15, 0
	s_add_u32 s22, s12, 8
	s_addc_u32 s23, s13, 0
	s_waitcnt lgkmcnt(0)
	s_add_u32 s24, s2, 8
	v_mov_b64_e32 v[4:5], 0
	s_addc_u32 s25, s3, 0
	s_mov_b64 s[26:27], 1
	v_mov_b64_e32 v[64:65], v[4:5]
.LBB0_2:                                ; =>This Inner Loop Header: Depth=1
	s_load_dwordx2 s[28:29], s[24:25], 0x0
                                        ; implicit-def: $vgpr66_vgpr67
	s_waitcnt lgkmcnt(0)
	v_or_b32_e32 v3, s29, v7
	v_cmp_ne_u64_e32 vcc, 0, v[2:3]
	s_and_saveexec_b64 s[2:3], vcc
	s_xor_b64 s[30:31], exec, s[2:3]
	s_cbranch_execz .LBB0_4
; %bb.3:                                ;   in Loop: Header=BB0_2 Depth=1
	v_cvt_f32_u32_e32 v1, s28
	v_cvt_f32_u32_e32 v3, s29
	s_sub_u32 s2, 0, s28
	s_subb_u32 s3, 0, s29
	v_fmac_f32_e32 v1, 0x4f800000, v3
	v_rcp_f32_e32 v1, v1
	s_nop 0
	v_mul_f32_e32 v1, 0x5f7ffffc, v1
	v_mul_f32_e32 v3, 0x2f800000, v1
	v_trunc_f32_e32 v3, v3
	v_fmac_f32_e32 v1, 0xcf800000, v3
	v_cvt_u32_f32_e32 v3, v3
	v_cvt_u32_f32_e32 v1, v1
	v_mul_lo_u32 v8, s2, v3
	v_mul_hi_u32 v10, s2, v1
	v_mul_lo_u32 v9, s3, v1
	v_add_u32_e32 v10, v10, v8
	v_mul_lo_u32 v12, s2, v1
	v_add_u32_e32 v13, v10, v9
	v_mul_hi_u32 v8, v1, v12
	v_mul_hi_u32 v11, v1, v13
	v_mul_lo_u32 v10, v1, v13
	v_mov_b32_e32 v9, v2
	v_lshl_add_u64 v[8:9], v[8:9], 0, v[10:11]
	v_mul_hi_u32 v11, v3, v12
	v_mul_lo_u32 v12, v3, v12
	v_add_co_u32_e32 v8, vcc, v8, v12
	v_mul_hi_u32 v10, v3, v13
	s_nop 0
	v_addc_co_u32_e32 v8, vcc, v9, v11, vcc
	v_mov_b32_e32 v9, v2
	s_nop 0
	v_addc_co_u32_e32 v11, vcc, 0, v10, vcc
	v_mul_lo_u32 v10, v3, v13
	v_lshl_add_u64 v[8:9], v[8:9], 0, v[10:11]
	v_add_co_u32_e32 v1, vcc, v1, v8
	v_mul_lo_u32 v10, s2, v1
	s_nop 0
	v_addc_co_u32_e32 v3, vcc, v3, v9, vcc
	v_mul_lo_u32 v8, s2, v3
	v_mul_hi_u32 v9, s2, v1
	v_add_u32_e32 v8, v9, v8
	v_mul_lo_u32 v9, s3, v1
	v_add_u32_e32 v12, v8, v9
	v_mul_hi_u32 v14, v3, v10
	v_mul_lo_u32 v15, v3, v10
	v_mul_hi_u32 v9, v1, v12
	v_mul_lo_u32 v8, v1, v12
	v_mul_hi_u32 v10, v1, v10
	v_mov_b32_e32 v11, v2
	v_lshl_add_u64 v[8:9], v[10:11], 0, v[8:9]
	v_add_co_u32_e32 v8, vcc, v8, v15
	v_mul_hi_u32 v13, v3, v12
	s_nop 0
	v_addc_co_u32_e32 v8, vcc, v9, v14, vcc
	v_mul_lo_u32 v10, v3, v12
	s_nop 0
	v_addc_co_u32_e32 v11, vcc, 0, v13, vcc
	v_mov_b32_e32 v9, v2
	v_lshl_add_u64 v[8:9], v[8:9], 0, v[10:11]
	v_add_co_u32_e32 v1, vcc, v1, v8
	v_mul_hi_u32 v10, v6, v1
	s_nop 0
	v_addc_co_u32_e32 v3, vcc, v3, v9, vcc
	v_mad_u64_u32 v[8:9], s[2:3], v6, v3, 0
	v_mov_b32_e32 v11, v2
	v_lshl_add_u64 v[8:9], v[10:11], 0, v[8:9]
	v_mad_u64_u32 v[12:13], s[2:3], v7, v1, 0
	v_add_co_u32_e32 v1, vcc, v8, v12
	v_mad_u64_u32 v[10:11], s[2:3], v7, v3, 0
	s_nop 0
	v_addc_co_u32_e32 v8, vcc, v9, v13, vcc
	v_mov_b32_e32 v9, v2
	s_nop 0
	v_addc_co_u32_e32 v11, vcc, 0, v11, vcc
	v_lshl_add_u64 v[8:9], v[8:9], 0, v[10:11]
	v_mul_lo_u32 v1, s29, v8
	v_mul_lo_u32 v3, s28, v9
	v_mad_u64_u32 v[10:11], s[2:3], s28, v8, 0
	v_add3_u32 v1, v11, v3, v1
	v_sub_u32_e32 v3, v7, v1
	v_mov_b32_e32 v11, s29
	v_sub_co_u32_e32 v14, vcc, v6, v10
	v_lshl_add_u64 v[12:13], v[8:9], 0, 1
	s_nop 0
	v_subb_co_u32_e64 v3, s[2:3], v3, v11, vcc
	v_subrev_co_u32_e64 v10, s[2:3], s28, v14
	v_subb_co_u32_e32 v1, vcc, v7, v1, vcc
	s_nop 0
	v_subbrev_co_u32_e64 v3, s[2:3], 0, v3, s[2:3]
	v_cmp_le_u32_e64 s[2:3], s29, v3
	v_cmp_le_u32_e32 vcc, s29, v1
	s_nop 0
	v_cndmask_b32_e64 v11, 0, -1, s[2:3]
	v_cmp_le_u32_e64 s[2:3], s28, v10
	s_nop 1
	v_cndmask_b32_e64 v10, 0, -1, s[2:3]
	v_cmp_eq_u32_e64 s[2:3], s29, v3
	s_nop 1
	v_cndmask_b32_e64 v3, v11, v10, s[2:3]
	v_lshl_add_u64 v[10:11], v[8:9], 0, 2
	v_cmp_ne_u32_e64 s[2:3], 0, v3
	s_nop 1
	v_cndmask_b32_e64 v3, v13, v11, s[2:3]
	v_cndmask_b32_e64 v11, 0, -1, vcc
	v_cmp_le_u32_e32 vcc, s28, v14
	s_nop 1
	v_cndmask_b32_e64 v13, 0, -1, vcc
	v_cmp_eq_u32_e32 vcc, s29, v1
	s_nop 1
	v_cndmask_b32_e32 v1, v11, v13, vcc
	v_cmp_ne_u32_e32 vcc, 0, v1
	v_cndmask_b32_e64 v1, v12, v10, s[2:3]
	s_nop 0
	v_cndmask_b32_e32 v67, v9, v3, vcc
	v_cndmask_b32_e32 v66, v8, v1, vcc
.LBB0_4:                                ;   in Loop: Header=BB0_2 Depth=1
	s_andn2_saveexec_b64 s[2:3], s[30:31]
	s_cbranch_execz .LBB0_6
; %bb.5:                                ;   in Loop: Header=BB0_2 Depth=1
	v_cvt_f32_u32_e32 v1, s28
	s_sub_i32 s30, 0, s28
	v_mov_b32_e32 v67, v2
	v_rcp_iflag_f32_e32 v1, v1
	s_nop 0
	v_mul_f32_e32 v1, 0x4f7ffffe, v1
	v_cvt_u32_f32_e32 v1, v1
	v_mul_lo_u32 v3, s30, v1
	v_mul_hi_u32 v3, v1, v3
	v_add_u32_e32 v1, v1, v3
	v_mul_hi_u32 v1, v6, v1
	v_mul_lo_u32 v3, v1, s28
	v_sub_u32_e32 v3, v6, v3
	v_add_u32_e32 v8, 1, v1
	v_subrev_u32_e32 v9, s28, v3
	v_cmp_le_u32_e32 vcc, s28, v3
	s_nop 1
	v_cndmask_b32_e32 v3, v3, v9, vcc
	v_cndmask_b32_e32 v1, v1, v8, vcc
	v_add_u32_e32 v8, 1, v1
	v_cmp_le_u32_e32 vcc, s28, v3
	s_nop 1
	v_cndmask_b32_e32 v66, v1, v8, vcc
.LBB0_6:                                ;   in Loop: Header=BB0_2 Depth=1
	s_or_b64 exec, exec, s[2:3]
	v_mad_u64_u32 v[8:9], s[2:3], v66, s28, 0
	s_load_dwordx2 s[2:3], s[22:23], 0x0
	v_mul_lo_u32 v1, v67, s28
	v_mul_lo_u32 v3, v66, s29
	s_load_dwordx2 s[28:29], s[20:21], 0x0
	s_add_u32 s26, s26, 1
	v_add3_u32 v1, v9, v3, v1
	v_sub_co_u32_e32 v3, vcc, v6, v8
	s_addc_u32 s27, s27, 0
	s_nop 0
	v_subb_co_u32_e32 v1, vcc, v7, v1, vcc
	s_add_u32 s20, s20, 8
	s_waitcnt lgkmcnt(0)
	v_mul_lo_u32 v6, s2, v1
	v_mul_lo_u32 v7, s3, v3
	v_mad_u64_u32 v[4:5], s[2:3], s2, v3, v[4:5]
	s_addc_u32 s21, s21, 0
	v_add3_u32 v5, v7, v5, v6
	v_mul_lo_u32 v1, s28, v1
	v_mul_lo_u32 v6, s29, v3
	v_mad_u64_u32 v[64:65], s[2:3], s28, v3, v[64:65]
	s_add_u32 s22, s22, 8
	v_add3_u32 v65, v6, v65, v1
	s_addc_u32 s23, s23, 0
	v_mov_b64_e32 v[6:7], s[10:11]
	s_add_u32 s24, s24, 8
	v_cmp_ge_u64_e32 vcc, s[26:27], v[6:7]
	s_addc_u32 s25, s25, 0
	s_cbranch_vccnz .LBB0_9
; %bb.7:                                ;   in Loop: Header=BB0_2 Depth=1
	v_mov_b64_e32 v[6:7], v[66:67]
	s_branch .LBB0_2
.LBB0_8:
	v_mov_b64_e32 v[64:65], v[4:5]
	v_mov_b64_e32 v[66:67], v[6:7]
.LBB0_9:
	s_load_dwordx2 s[0:1], s[0:1], 0x28
	s_lshl_b64 s[2:3], s[10:11], 3
	s_add_u32 s20, s14, s2
	s_addc_u32 s21, s15, s3
                                        ; implicit-def: $vgpr140
	s_waitcnt lgkmcnt(0)
	v_cmp_gt_u64_e32 vcc, s[0:1], v[66:67]
	v_cmp_le_u64_e64 s[0:1], s[0:1], v[66:67]
	s_and_saveexec_b64 s[10:11], s[0:1]
	s_xor_b64 s[0:1], exec, s[10:11]
; %bb.10:
	s_mov_b32 s10, 0x1f81f82
	v_mul_hi_u32 v1, v0, s10
	v_mul_u32_u24_e32 v1, 0x82, v1
	v_sub_u32_e32 v140, v0, v1
                                        ; implicit-def: $vgpr0
                                        ; implicit-def: $vgpr4_vgpr5
; %bb.11:
	s_or_saveexec_b64 s[0:1], s[0:1]
                                        ; implicit-def: $vgpr26_vgpr27
                                        ; implicit-def: $vgpr38_vgpr39
                                        ; implicit-def: $vgpr18_vgpr19
                                        ; implicit-def: $vgpr34_vgpr35
                                        ; implicit-def: $vgpr14_vgpr15
                                        ; implicit-def: $vgpr30_vgpr31
                                        ; implicit-def: $vgpr10_vgpr11
                                        ; implicit-def: $vgpr22_vgpr23
                                        ; implicit-def: $vgpr6_vgpr7
                                        ; implicit-def: $vgpr2_vgpr3
	s_xor_b64 exec, exec, s[0:1]
	s_cbranch_execz .LBB0_13
; %bb.12:
	s_add_u32 s2, s12, s2
	s_addc_u32 s3, s13, s3
	s_load_dwordx2 s[2:3], s[2:3], 0x0
	s_mov_b32 s10, 0x1f81f82
	s_waitcnt lgkmcnt(0)
	v_mul_lo_u32 v1, s3, v66
	v_mul_lo_u32 v6, s2, v67
	v_mad_u64_u32 v[2:3], s[2:3], s2, v66, 0
	v_add3_u32 v3, v3, v6, v1
	v_mul_hi_u32 v1, v0, s10
	v_mul_u32_u24_e32 v1, 0x82, v1
	v_sub_u32_e32 v140, v0, v1
	v_mad_u64_u32 v[0:1], s[2:3], s18, v140, 0
	v_mov_b32_e32 v6, v1
	v_mad_u64_u32 v[6:7], s[2:3], s19, v140, v[6:7]
	v_lshl_add_u64 v[2:3], v[2:3], 4, s[4:5]
	v_mov_b32_e32 v1, v6
	v_lshl_add_u64 v[24:25], v[4:5], 4, v[2:3]
	v_add_u32_e32 v3, 0x82, v140
	v_lshl_add_u64 v[8:9], v[0:1], 4, v[24:25]
	v_mad_u64_u32 v[0:1], s[2:3], s18, v3, 0
	v_mov_b32_e32 v2, v1
	v_mad_u64_u32 v[2:3], s[2:3], s19, v3, v[2:3]
	v_mov_b32_e32 v1, v2
	v_lshl_add_u64 v[10:11], v[0:1], 4, v[24:25]
	global_load_dwordx4 v[0:3], v[8:9], off
	global_load_dwordx4 v[4:7], v[10:11], off
	v_add_u32_e32 v11, 0x104, v140
	v_mad_u64_u32 v[8:9], s[2:3], s18, v11, 0
	v_mov_b32_e32 v10, v9
	v_mad_u64_u32 v[10:11], s[2:3], s19, v11, v[10:11]
	v_mov_b32_e32 v9, v10
	v_add_u32_e32 v11, 0x186, v140
	v_lshl_add_u64 v[12:13], v[8:9], 4, v[24:25]
	v_mad_u64_u32 v[8:9], s[2:3], s18, v11, 0
	v_mov_b32_e32 v10, v9
	v_mad_u64_u32 v[10:11], s[2:3], s19, v11, v[10:11]
	v_mov_b32_e32 v9, v10
	v_lshl_add_u64 v[14:15], v[8:9], 4, v[24:25]
	global_load_dwordx4 v[20:23], v[12:13], off
	global_load_dwordx4 v[8:11], v[14:15], off
	v_add_u32_e32 v15, 0x208, v140
	v_mad_u64_u32 v[12:13], s[2:3], s18, v15, 0
	v_mov_b32_e32 v14, v13
	v_mad_u64_u32 v[14:15], s[2:3], s19, v15, v[14:15]
	v_mov_b32_e32 v13, v14
	;; [unrolled: 14-line block ×4, first 2 shown]
	v_add_u32_e32 v37, 0x492, v140
	v_lshl_add_u64 v[40:41], v[26:27], 4, v[24:25]
	v_mad_u64_u32 v[26:27], s[2:3], s18, v37, 0
	v_mov_b32_e32 v36, v27
	v_mad_u64_u32 v[36:37], s[2:3], s19, v37, v[36:37]
	v_mov_b32_e32 v27, v36
	v_lshl_add_u64 v[42:43], v[26:27], 4, v[24:25]
	global_load_dwordx4 v[36:39], v[40:41], off
	global_load_dwordx4 v[24:27], v[42:43], off
.LBB0_13:
	s_or_b64 exec, exec, s[0:1]
	s_waitcnt vmcnt(3)
	v_add_f64 v[40:41], v[32:33], v[28:29]
	s_mov_b32 s2, 0x134454ff
	v_fma_f64 v[40:41], -0.5, v[40:41], v[0:1]
	s_waitcnt vmcnt(1)
	v_add_f64 v[46:47], v[22:23], -v[38:39]
	s_mov_b32 s3, 0x3fee6f0e
	s_mov_b32 s0, 0x4755a5e
	s_mov_b32 s13, 0xbfee6f0e
	s_mov_b32 s12, s2
	v_fma_f64 v[42:43], s[2:3], v[46:47], v[40:41]
	v_add_f64 v[48:49], v[30:31], -v[34:35]
	s_mov_b32 s1, 0x3fe2cf23
	v_add_f64 v[50:51], v[20:21], -v[28:29]
	v_add_f64 v[52:53], v[36:37], -v[32:33]
	s_mov_b32 s10, 0x372fe950
	v_fmac_f64_e32 v[40:41], s[12:13], v[46:47]
	s_mov_b32 s15, 0xbfe2cf23
	s_mov_b32 s14, s0
	v_fmac_f64_e32 v[42:43], s[0:1], v[48:49]
	v_add_f64 v[50:51], v[52:53], v[50:51]
	s_mov_b32 s11, 0x3fd3c6ef
	v_fmac_f64_e32 v[40:41], s[14:15], v[48:49]
	v_fmac_f64_e32 v[42:43], s[10:11], v[50:51]
	;; [unrolled: 1-line block ×3, first 2 shown]
	v_add_f64 v[50:51], v[36:37], v[20:21]
	v_add_f64 v[44:45], v[20:21], v[0:1]
	v_fmac_f64_e32 v[0:1], -0.5, v[50:51]
	v_fma_f64 v[50:51], s[12:13], v[48:49], v[0:1]
	v_add_f64 v[52:53], v[28:29], -v[20:21]
	v_add_f64 v[54:55], v[32:33], -v[36:37]
	v_fmac_f64_e32 v[0:1], s[2:3], v[48:49]
	v_fmac_f64_e32 v[50:51], s[0:1], v[46:47]
	v_add_f64 v[52:53], v[54:55], v[52:53]
	v_fmac_f64_e32 v[0:1], s[14:15], v[46:47]
	v_add_f64 v[46:47], v[34:35], v[30:31]
	v_fmac_f64_e32 v[50:51], s[10:11], v[52:53]
	v_fmac_f64_e32 v[0:1], s[10:11], v[52:53]
	v_fma_f64 v[46:47], -0.5, v[46:47], v[2:3]
	v_add_f64 v[20:21], v[20:21], -v[36:37]
	v_add_f64 v[52:53], v[22:23], -v[30:31]
	v_add_f64 v[54:55], v[38:39], -v[34:35]
	v_fma_f64 v[48:49], s[12:13], v[20:21], v[46:47]
	v_add_f64 v[52:53], v[54:55], v[52:53]
	v_add_f64 v[54:55], v[28:29], -v[32:33]
	v_fmac_f64_e32 v[46:47], s[2:3], v[20:21]
	v_fmac_f64_e32 v[48:49], s[14:15], v[54:55]
	;; [unrolled: 1-line block ×3, first 2 shown]
	v_add_f64 v[56:57], v[38:39], v[22:23]
	v_fmac_f64_e32 v[48:49], s[10:11], v[52:53]
	v_fmac_f64_e32 v[46:47], s[10:11], v[52:53]
	v_add_f64 v[52:53], v[22:23], v[2:3]
	v_fmac_f64_e32 v[2:3], -0.5, v[56:57]
	v_add_f64 v[28:29], v[28:29], v[44:45]
	v_add_f64 v[28:29], v[32:33], v[28:29]
	;; [unrolled: 1-line block ×3, first 2 shown]
	v_add_f64 v[22:23], v[30:31], -v[22:23]
	v_fma_f64 v[44:45], s[2:3], v[54:55], v[2:3]
	v_add_f64 v[30:31], v[34:35], -v[38:39]
	v_fmac_f64_e32 v[2:3], s[12:13], v[54:55]
	v_fmac_f64_e32 v[44:45], s[14:15], v[20:21]
	v_add_f64 v[22:23], v[30:31], v[22:23]
	v_fmac_f64_e32 v[2:3], s[0:1], v[20:21]
	v_fmac_f64_e32 v[44:45], s[10:11], v[22:23]
	;; [unrolled: 1-line block ×3, first 2 shown]
	v_add_f64 v[22:23], v[16:17], v[12:13]
	v_add_f64 v[32:33], v[34:35], v[32:33]
	v_fma_f64 v[30:31], -0.5, v[22:23], v[4:5]
	s_waitcnt vmcnt(0)
	v_add_f64 v[22:23], v[10:11], -v[26:27]
	v_add_f64 v[28:29], v[36:37], v[28:29]
	v_add_f64 v[32:33], v[38:39], v[32:33]
	v_fma_f64 v[34:35], s[2:3], v[22:23], v[30:31]
	v_add_f64 v[36:37], v[14:15], -v[18:19]
	v_add_f64 v[38:39], v[8:9], -v[12:13]
	;; [unrolled: 1-line block ×3, first 2 shown]
	v_fmac_f64_e32 v[30:31], s[12:13], v[22:23]
	v_fmac_f64_e32 v[34:35], s[0:1], v[36:37]
	v_add_f64 v[38:39], v[52:53], v[38:39]
	v_fmac_f64_e32 v[30:31], s[14:15], v[36:37]
	v_fmac_f64_e32 v[34:35], s[10:11], v[38:39]
	;; [unrolled: 1-line block ×3, first 2 shown]
	v_add_f64 v[38:39], v[24:25], v[8:9]
	v_add_f64 v[20:21], v[8:9], v[4:5]
	v_fmac_f64_e32 v[4:5], -0.5, v[38:39]
	v_fma_f64 v[38:39], s[12:13], v[36:37], v[4:5]
	v_add_f64 v[52:53], v[12:13], -v[8:9]
	v_add_f64 v[54:55], v[16:17], -v[24:25]
	v_fmac_f64_e32 v[4:5], s[2:3], v[36:37]
	v_fmac_f64_e32 v[38:39], s[0:1], v[22:23]
	v_add_f64 v[52:53], v[54:55], v[52:53]
	v_fmac_f64_e32 v[4:5], s[14:15], v[22:23]
	v_add_f64 v[22:23], v[18:19], v[14:15]
	v_fmac_f64_e32 v[38:39], s[10:11], v[52:53]
	v_fmac_f64_e32 v[4:5], s[10:11], v[52:53]
	v_fma_f64 v[36:37], -0.5, v[22:23], v[6:7]
	v_add_f64 v[8:9], v[8:9], -v[24:25]
	v_add_f64 v[52:53], v[10:11], -v[14:15]
	;; [unrolled: 1-line block ×3, first 2 shown]
	v_fma_f64 v[22:23], s[12:13], v[8:9], v[36:37]
	v_add_f64 v[52:53], v[54:55], v[52:53]
	v_add_f64 v[54:55], v[12:13], -v[16:17]
	v_fmac_f64_e32 v[36:37], s[2:3], v[8:9]
	v_fmac_f64_e32 v[22:23], s[14:15], v[54:55]
	;; [unrolled: 1-line block ×3, first 2 shown]
	v_add_f64 v[12:13], v[12:13], v[20:21]
	v_fmac_f64_e32 v[22:23], s[10:11], v[52:53]
	v_fmac_f64_e32 v[36:37], s[10:11], v[52:53]
	v_add_f64 v[52:53], v[10:11], v[6:7]
	v_add_f64 v[12:13], v[16:17], v[12:13]
	;; [unrolled: 1-line block ×5, first 2 shown]
	v_fmac_f64_e32 v[6:7], -0.5, v[56:57]
	v_add_f64 v[12:13], v[18:19], v[12:13]
	v_add_f64 v[24:25], v[26:27], v[12:13]
	v_add_f64 v[10:11], v[14:15], -v[10:11]
	v_fma_f64 v[14:15], s[2:3], v[54:55], v[6:7]
	v_add_f64 v[12:13], v[18:19], -v[26:27]
	v_fmac_f64_e32 v[6:7], s[12:13], v[54:55]
	v_fmac_f64_e32 v[14:15], s[14:15], v[8:9]
	v_add_f64 v[10:11], v[12:13], v[10:11]
	v_fmac_f64_e32 v[6:7], s[0:1], v[8:9]
	v_fmac_f64_e32 v[14:15], s[10:11], v[10:11]
	;; [unrolled: 1-line block ×3, first 2 shown]
	s_mov_b32 s18, 0x9b97f4a8
	v_mul_f64 v[10:11], v[4:5], s[10:11]
	s_mov_b32 s19, 0x3fe9e377
	v_fma_f64 v[56:57], v[6:7], s[2:3], -v[10:11]
	v_mul_f64 v[6:7], v[6:7], s[10:11]
	v_fma_f64 v[58:59], v[4:5], s[12:13], -v[6:7]
	v_mul_f64 v[6:7], v[30:31], s[18:19]
	v_mul_f64 v[52:53], v[34:35], s[18:19]
	;; [unrolled: 1-line block ×3, first 2 shown]
	v_fma_f64 v[60:61], v[36:37], s[0:1], -v[6:7]
	v_fmac_f64_e32 v[52:53], s[0:1], v[22:23]
	v_mul_f64 v[54:55], v[38:39], s[10:11]
	v_fmac_f64_e32 v[34:35], s[18:19], v[22:23]
	v_mul_f64 v[38:39], v[38:39], s[12:13]
	v_add_f64 v[10:11], v[24:25], v[32:33]
	v_add_f64 v[22:23], v[32:33], -v[24:25]
	v_add_f64 v[24:25], v[40:41], v[60:61]
	v_mul_f64 v[26:27], v[36:37], s[18:19]
	v_add_f64 v[36:37], v[40:41], -v[60:61]
	v_mul_u32_u24_e32 v40, 10, v140
	s_load_dwordx2 s[4:5], s[20:21], 0x0
	v_add_f64 v[8:9], v[20:21], v[28:29]
	v_fmac_f64_e32 v[54:55], s[2:3], v[14:15]
	v_add_f64 v[4:5], v[0:1], v[56:57]
	v_fmac_f64_e32 v[38:39], s[10:11], v[14:15]
	v_fma_f64 v[62:63], v[30:31], s[14:15], -v[26:27]
	v_add_f64 v[0:1], v[0:1], -v[56:57]
	v_lshl_add_u32 v40, v40, 4, 0
	s_movk_i32 s20, 0xcd
	v_add_f64 v[12:13], v[42:43], v[52:53]
	v_add_f64 v[16:17], v[50:51], v[54:55]
	v_add_f64 v[20:21], v[28:29], -v[20:21]
	v_add_f64 v[14:15], v[48:49], v[34:35]
	v_add_f64 v[18:19], v[44:45], v[38:39]
	;; [unrolled: 1-line block ×4, first 2 shown]
	v_add_f64 v[28:29], v[42:43], -v[52:53]
	v_add_f64 v[32:33], v[50:51], -v[54:55]
	;; [unrolled: 1-line block ×6, first 2 shown]
	ds_write_b128 v40, v[8:11]
	ds_write_b128 v40, v[12:15] offset:16
	ds_write_b128 v40, v[16:19] offset:32
	;; [unrolled: 1-line block ×9, first 2 shown]
	v_mul_lo_u16_sdwa v0, v140, s20 dst_sel:DWORD dst_unused:UNUSED_PAD src0_sel:BYTE_0 src1_sel:DWORD
	v_lshrrev_b16_e32 v41, 11, v0
	v_mul_lo_u16_e32 v0, 10, v41
	v_sub_u16_e32 v68, v140, v0
	v_mov_b32_e32 v0, 9
	v_mul_u32_u24_sdwa v0, v68, v0 dst_sel:DWORD dst_unused:UNUSED_PAD src0_sel:BYTE_0 src1_sel:DWORD
	v_lshlrev_b32_e32 v32, 4, v0
	s_waitcnt lgkmcnt(0)
	s_barrier
	global_load_dwordx4 v[0:3], v32, s[8:9]
	global_load_dwordx4 v[4:7], v32, s[8:9] offset:16
	global_load_dwordx4 v[8:11], v32, s[8:9] offset:32
	;; [unrolled: 1-line block ×8, first 2 shown]
	s_movk_i32 s20, 0xff70
	v_mad_i32_i24 v56, v140, s20, v40
	ds_read_b128 v[42:45], v56 offset:2080
	ds_read_b128 v[32:35], v56
	ds_read_b128 v[46:49], v56 offset:4160
	v_mul_u32_u24_e32 v41, 0x640, v41
	s_waitcnt vmcnt(8) lgkmcnt(2)
	v_mul_f64 v[50:51], v[44:45], v[2:3]
	v_fma_f64 v[50:51], v[42:43], v[0:1], -v[50:51]
	v_mul_f64 v[42:43], v[42:43], v[2:3]
	v_fmac_f64_e32 v[42:43], v[44:45], v[0:1]
	ds_read_b128 v[0:3], v56 offset:6240
	s_waitcnt vmcnt(7) lgkmcnt(1)
	v_mul_f64 v[44:45], v[48:49], v[6:7]
	v_fma_f64 v[44:45], v[46:47], v[4:5], -v[44:45]
	v_mul_f64 v[46:47], v[46:47], v[6:7]
	v_fmac_f64_e32 v[46:47], v[48:49], v[4:5]
	ds_read_b128 v[4:7], v56 offset:8320
	s_waitcnt vmcnt(6) lgkmcnt(1)
	v_mul_f64 v[48:49], v[2:3], v[10:11]
	v_mul_f64 v[52:53], v[0:1], v[10:11]
	v_fma_f64 v[48:49], v[0:1], v[8:9], -v[48:49]
	v_fmac_f64_e32 v[52:53], v[2:3], v[8:9]
	ds_read_b128 v[0:3], v56 offset:10400
	s_waitcnt vmcnt(5) lgkmcnt(1)
	v_mul_f64 v[8:9], v[6:7], v[14:15]
	v_mul_f64 v[14:15], v[4:5], v[14:15]
	v_fma_f64 v[54:55], v[4:5], v[12:13], -v[8:9]
	;; [unrolled: 6-line block ×4, first 2 shown]
	v_fmac_f64_e32 v[22:23], v[6:7], v[20:21]
	ds_read_b128 v[4:7], v56 offset:16640
	ds_read_b128 v[8:11], v56 offset:18720
	s_waitcnt vmcnt(2) lgkmcnt(2)
	v_mul_f64 v[20:21], v[2:3], v[26:27]
	v_fma_f64 v[20:21], v[0:1], v[24:25], -v[20:21]
	v_mul_f64 v[0:1], v[0:1], v[26:27]
	v_fmac_f64_e32 v[0:1], v[2:3], v[24:25]
	s_waitcnt vmcnt(1) lgkmcnt(1)
	v_mul_f64 v[2:3], v[6:7], v[30:31]
	v_fma_f64 v[2:3], v[4:5], v[28:29], -v[2:3]
	v_mul_f64 v[4:5], v[4:5], v[30:31]
	v_fmac_f64_e32 v[4:5], v[6:7], v[28:29]
	s_waitcnt vmcnt(0) lgkmcnt(0)
	v_mul_f64 v[6:7], v[10:11], v[38:39]
	v_add_f64 v[24:25], v[54:55], v[16:17]
	v_fma_f64 v[6:7], v[8:9], v[36:37], -v[6:7]
	v_mul_f64 v[8:9], v[8:9], v[38:39]
	v_fma_f64 v[30:31], -0.5, v[24:25], v[32:33]
	v_add_f64 v[24:25], v[46:47], -v[4:5]
	v_fmac_f64_e32 v[8:9], v[10:11], v[36:37]
	v_fma_f64 v[26:27], s[2:3], v[24:25], v[30:31]
	v_add_f64 v[28:29], v[14:15], -v[22:23]
	v_add_f64 v[36:37], v[44:45], -v[54:55]
	;; [unrolled: 1-line block ×3, first 2 shown]
	v_fmac_f64_e32 v[30:31], s[12:13], v[24:25]
	v_fmac_f64_e32 v[26:27], s[0:1], v[28:29]
	v_add_f64 v[36:37], v[36:37], v[38:39]
	v_fmac_f64_e32 v[30:31], s[14:15], v[28:29]
	v_fmac_f64_e32 v[26:27], s[10:11], v[36:37]
	;; [unrolled: 1-line block ×3, first 2 shown]
	v_add_f64 v[36:37], v[44:45], v[2:3]
	v_add_f64 v[10:11], v[32:33], v[44:45]
	v_fmac_f64_e32 v[32:33], -0.5, v[36:37]
	v_add_f64 v[10:11], v[10:11], v[54:55]
	v_fma_f64 v[36:37], s[12:13], v[28:29], v[32:33]
	v_add_f64 v[38:39], v[54:55], -v[44:45]
	v_add_f64 v[56:57], v[16:17], -v[2:3]
	v_fmac_f64_e32 v[32:33], s[2:3], v[28:29]
	v_add_f64 v[10:11], v[10:11], v[16:17]
	v_fmac_f64_e32 v[36:37], s[0:1], v[24:25]
	v_add_f64 v[38:39], v[38:39], v[56:57]
	;; [unrolled: 2-line block ×3, first 2 shown]
	v_add_f64 v[10:11], v[10:11], v[2:3]
	v_fmac_f64_e32 v[36:37], s[10:11], v[38:39]
	v_fmac_f64_e32 v[32:33], s[10:11], v[38:39]
	v_fma_f64 v[38:39], -0.5, v[28:29], v[34:35]
	v_add_f64 v[2:3], v[44:45], -v[2:3]
	v_fma_f64 v[44:45], s[12:13], v[2:3], v[38:39]
	v_add_f64 v[16:17], v[54:55], -v[16:17]
	v_add_f64 v[28:29], v[46:47], -v[14:15]
	;; [unrolled: 1-line block ×3, first 2 shown]
	v_fmac_f64_e32 v[38:39], s[2:3], v[2:3]
	v_fmac_f64_e32 v[44:45], s[14:15], v[16:17]
	v_add_f64 v[28:29], v[28:29], v[54:55]
	v_fmac_f64_e32 v[38:39], s[0:1], v[16:17]
	v_fmac_f64_e32 v[44:45], s[10:11], v[28:29]
	;; [unrolled: 1-line block ×3, first 2 shown]
	v_add_f64 v[28:29], v[46:47], v[4:5]
	v_add_f64 v[24:25], v[34:35], v[46:47]
	v_fmac_f64_e32 v[34:35], -0.5, v[28:29]
	v_fma_f64 v[54:55], s[2:3], v[16:17], v[34:35]
	v_fmac_f64_e32 v[34:35], s[12:13], v[16:17]
	v_add_f64 v[24:25], v[24:25], v[14:15]
	v_fmac_f64_e32 v[54:55], s[14:15], v[2:3]
	v_fmac_f64_e32 v[34:35], s[0:1], v[2:3]
	v_add_f64 v[2:3], v[50:51], v[48:49]
	v_add_f64 v[24:25], v[24:25], v[22:23]
	;; [unrolled: 1-line block ×4, first 2 shown]
	v_add_f64 v[14:15], v[14:15], -v[46:47]
	v_add_f64 v[4:5], v[22:23], -v[4:5]
	v_add_f64 v[2:3], v[2:3], v[20:21]
	v_add_f64 v[4:5], v[14:15], v[4:5]
	;; [unrolled: 1-line block ×4, first 2 shown]
	v_fmac_f64_e32 v[54:55], s[10:11], v[4:5]
	v_fmac_f64_e32 v[34:35], s[10:11], v[4:5]
	v_fma_f64 v[2:3], -0.5, v[2:3], v[50:51]
	v_add_f64 v[4:5], v[52:53], -v[8:9]
	v_fma_f64 v[16:17], s[2:3], v[4:5], v[2:3]
	v_add_f64 v[22:23], v[18:19], -v[0:1]
	v_add_f64 v[28:29], v[48:49], -v[12:13]
	;; [unrolled: 1-line block ×3, first 2 shown]
	v_fmac_f64_e32 v[2:3], s[12:13], v[4:5]
	v_fmac_f64_e32 v[16:17], s[0:1], v[22:23]
	v_add_f64 v[28:29], v[28:29], v[46:47]
	v_fmac_f64_e32 v[2:3], s[14:15], v[22:23]
	v_fmac_f64_e32 v[16:17], s[10:11], v[28:29]
	;; [unrolled: 1-line block ×3, first 2 shown]
	v_add_f64 v[28:29], v[48:49], v[6:7]
	v_fmac_f64_e32 v[50:51], -0.5, v[28:29]
	v_fma_f64 v[28:29], s[12:13], v[22:23], v[50:51]
	v_fmac_f64_e32 v[50:51], s[2:3], v[22:23]
	v_fmac_f64_e32 v[28:29], s[0:1], v[4:5]
	;; [unrolled: 1-line block ×3, first 2 shown]
	v_add_f64 v[4:5], v[42:43], v[52:53]
	v_add_f64 v[4:5], v[4:5], v[18:19]
	v_add_f64 v[46:47], v[12:13], -v[48:49]
	v_add_f64 v[56:57], v[20:21], -v[6:7]
	v_add_f64 v[4:5], v[4:5], v[0:1]
	v_add_f64 v[46:47], v[46:47], v[56:57]
	;; [unrolled: 1-line block ×4, first 2 shown]
	v_fmac_f64_e32 v[28:29], s[10:11], v[46:47]
	v_fmac_f64_e32 v[50:51], s[10:11], v[46:47]
	v_fma_f64 v[46:47], -0.5, v[4:5], v[42:43]
	v_add_f64 v[4:5], v[48:49], -v[6:7]
	v_fma_f64 v[6:7], s[12:13], v[4:5], v[46:47]
	v_add_f64 v[12:13], v[12:13], -v[20:21]
	v_add_f64 v[20:21], v[52:53], -v[18:19]
	;; [unrolled: 1-line block ×3, first 2 shown]
	v_fmac_f64_e32 v[46:47], s[2:3], v[4:5]
	v_fmac_f64_e32 v[6:7], s[14:15], v[12:13]
	v_add_f64 v[20:21], v[20:21], v[48:49]
	v_fmac_f64_e32 v[46:47], s[0:1], v[12:13]
	v_fmac_f64_e32 v[6:7], s[10:11], v[20:21]
	;; [unrolled: 1-line block ×3, first 2 shown]
	v_add_f64 v[20:21], v[52:53], v[8:9]
	v_fmac_f64_e32 v[42:43], -0.5, v[20:21]
	v_fma_f64 v[20:21], s[2:3], v[12:13], v[42:43]
	v_add_f64 v[18:19], v[18:19], -v[52:53]
	v_add_f64 v[0:1], v[0:1], -v[8:9]
	v_fmac_f64_e32 v[42:43], s[12:13], v[12:13]
	v_add_f64 v[0:1], v[18:19], v[0:1]
	v_fmac_f64_e32 v[42:43], s[0:1], v[4:5]
	v_mul_f64 v[56:57], v[16:17], s[14:15]
	v_fmac_f64_e32 v[42:43], s[10:11], v[0:1]
	v_mul_f64 v[48:49], v[6:7], s[0:1]
	;; [unrolled: 2-line block ×3, first 2 shown]
	v_fma_f64 v[58:59], v[42:43], s[2:3], -v[6:7]
	v_mul_f64 v[6:7], v[2:3], s[18:19]
	v_fmac_f64_e32 v[20:21], s[14:15], v[4:5]
	v_fma_f64 v[62:63], v[46:47], s[0:1], -v[6:7]
	v_mul_f64 v[6:7], v[42:43], s[10:11]
	v_fmac_f64_e32 v[20:21], s[10:11], v[0:1]
	v_fma_f64 v[42:43], v[50:51], s[12:13], -v[6:7]
	v_add_f64 v[0:1], v[10:11], v[14:15]
	v_fmac_f64_e32 v[48:49], s[18:19], v[16:17]
	v_mul_f64 v[52:53], v[20:21], s[2:3]
	v_mul_f64 v[60:61], v[28:29], s[12:13]
	;; [unrolled: 1-line block ×3, first 2 shown]
	v_add_f64 v[16:17], v[10:11], -v[14:15]
	v_add_f64 v[14:15], v[34:35], v[42:43]
	v_add_f64 v[34:35], v[34:35], -v[42:43]
	v_mov_b32_e32 v42, 4
	v_fmac_f64_e32 v[52:53], s[10:11], v[28:29]
	v_fmac_f64_e32 v[60:61], s[10:11], v[20:21]
	v_fma_f64 v[46:47], v[2:3], s[14:15], -v[6:7]
	v_lshlrev_b32_sdwa v42, v42, v68 dst_sel:DWORD dst_unused:UNUSED_PAD src0_sel:DWORD src1_sel:BYTE_0
	s_movk_i32 s10, 0x64
	v_add_f64 v[4:5], v[26:27], v[48:49]
	v_add_f64 v[8:9], v[36:37], v[52:53]
	;; [unrolled: 1-line block ×4, first 2 shown]
	v_add_f64 v[18:19], v[24:25], -v[22:23]
	v_add_f64 v[20:21], v[30:31], v[62:63]
	v_add_f64 v[6:7], v[44:45], v[56:57]
	;; [unrolled: 1-line block ×4, first 2 shown]
	v_add_f64 v[24:25], v[26:27], -v[48:49]
	v_add_f64 v[28:29], v[36:37], -v[52:53]
	;; [unrolled: 1-line block ×7, first 2 shown]
	v_add3_u32 v41, 0, v41, v42
	v_cmp_gt_u32_e64 s[0:1], s10, v140
	s_barrier
	ds_write_b128 v41, v[0:3]
	ds_write_b128 v41, v[4:7] offset:160
	ds_write_b128 v41, v[8:11] offset:320
	ds_write_b128 v41, v[12:15] offset:480
	ds_write_b128 v41, v[20:23] offset:640
	ds_write_b128 v41, v[16:19] offset:800
	ds_write_b128 v41, v[24:27] offset:960
	ds_write_b128 v41, v[28:31] offset:1120
	ds_write_b128 v41, v[32:35] offset:1280
	ds_write_b128 v41, v[36:39] offset:1440
	s_waitcnt lgkmcnt(0)
	s_barrier
	s_waitcnt lgkmcnt(0)
                                        ; implicit-def: $vgpr50_vgpr51
                                        ; implicit-def: $vgpr46_vgpr47
                                        ; implicit-def: $vgpr42_vgpr43
	s_and_saveexec_b64 s[2:3], s[0:1]
	s_cbranch_execz .LBB0_15
; %bb.14:
	v_mul_i32_i24_e32 v0, 0xffffff70, v140
	v_add_u32_e32 v48, v40, v0
	ds_read_b128 v[0:3], v48
	ds_read_b128 v[4:7], v48 offset:1600
	ds_read_b128 v[8:11], v48 offset:3200
	ds_read_b128 v[12:15], v48 offset:4800
	ds_read_b128 v[20:23], v48 offset:6400
	ds_read_b128 v[16:19], v48 offset:8000
	ds_read_b128 v[24:27], v48 offset:9600
	ds_read_b128 v[28:31], v48 offset:11200
	ds_read_b128 v[32:35], v48 offset:12800
	ds_read_b128 v[36:39], v48 offset:14400
	ds_read_b128 v[40:43], v48 offset:16000
	ds_read_b128 v[44:47], v48 offset:17600
	ds_read_b128 v[48:51], v48 offset:19200
.LBB0_15:
	s_or_b64 exec, exec, s[2:3]
	v_cmp_gt_u32_e64 s[2:3], s10, v140
	s_and_b64 s[2:3], vcc, s[2:3]
	s_and_saveexec_b64 s[10:11], s[2:3]
	s_cbranch_execz .LBB0_17
; %bb.16:
	v_add_u32_e32 v52, 0xffffff9c, v140
	v_cndmask_b32_e64 v52, v52, v140, s[0:1]
	v_mul_i32_i24_e32 v52, 12, v52
	v_mov_b32_e32 v53, 0
	v_lshl_add_u64 v[68:69], v[52:53], 4, s[8:9]
	global_load_dwordx4 v[52:55], v[68:69], off offset:1520
	global_load_dwordx4 v[60:63], v[68:69], off offset:1536
	;; [unrolled: 1-line block ×12, first 2 shown]
	s_mov_b32 s2, 0x93053d00
	s_mov_b32 s0, 0xe00740e9
	;; [unrolled: 1-line block ×36, first 2 shown]
	s_waitcnt vmcnt(11) lgkmcnt(6)
	v_mul_f64 v[68:69], v[26:27], v[52:53]
	v_mul_f64 v[26:27], v[26:27], v[54:55]
	s_waitcnt vmcnt(10) lgkmcnt(5)
	v_mul_f64 v[70:71], v[30:31], v[60:61]
	s_waitcnt vmcnt(8) lgkmcnt(4)
	v_mul_f64 v[72:73], v[34:35], v[90:91]
	v_mul_f64 v[34:35], v[34:35], v[92:93]
	v_mul_f64 v[30:31], v[30:31], v[62:63]
	s_waitcnt vmcnt(5)
	v_mul_f64 v[84:85], v[14:15], v[102:103]
	s_waitcnt vmcnt(4) lgkmcnt(2)
	v_mul_f64 v[80:81], v[42:43], v[106:107]
	v_mul_f64 v[126:127], v[42:43], v[108:109]
	s_waitcnt vmcnt(3)
	v_mul_f64 v[86:87], v[10:11], v[110:111]
	s_waitcnt vmcnt(1)
	v_mul_f64 v[88:89], v[6:7], v[118:119]
	s_waitcnt vmcnt(0) lgkmcnt(0)
	v_mul_f64 v[42:43], v[50:51], v[122:123]
	v_mul_f64 v[82:83], v[46:47], v[114:115]
	;; [unrolled: 1-line block ×4, first 2 shown]
	v_fmac_f64_e32 v[88:89], v[4:5], v[120:121]
	v_fmac_f64_e32 v[42:43], v[48:49], v[124:125]
	v_mul_f64 v[10:11], v[10:11], v[112:113]
	v_mul_f64 v[128:129], v[46:47], v[116:117]
	v_fma_f64 v[46:47], v[24:25], v[52:53], -v[26:27]
	v_fma_f64 v[52:53], v[32:33], v[90:91], -v[34:35]
	v_fmac_f64_e32 v[80:81], v[40:41], v[108:109]
	v_fma_f64 v[40:41], v[40:41], v[106:107], -v[126:127]
	v_fmac_f64_e32 v[86:87], v[8:9], v[112:113]
	v_fmac_f64_e32 v[82:83], v[44:45], v[116:117]
	v_fma_f64 v[90:91], v[4:5], v[118:119], -v[6:7]
	v_fma_f64 v[48:49], v[48:49], v[122:123], -v[130:131]
	v_add_f64 v[106:107], v[88:89], v[42:43]
	v_mul_f64 v[74:75], v[18:19], v[56:57]
	v_mul_f64 v[78:79], v[22:23], v[94:95]
	;; [unrolled: 1-line block ×4, first 2 shown]
	v_fmac_f64_e32 v[70:71], v[28:29], v[62:63]
	v_fmac_f64_e32 v[72:73], v[32:33], v[92:93]
	;; [unrolled: 1-line block ×3, first 2 shown]
	v_fma_f64 v[62:63], v[8:9], v[110:111], -v[10:11]
	v_fma_f64 v[44:45], v[44:45], v[114:115], -v[128:129]
	v_add_f64 v[108:109], v[86:87], v[82:83]
	v_add_f64 v[92:93], v[90:91], -v[48:49]
	v_mul_f64 v[8:9], v[106:107], s[2:3]
	v_mul_f64 v[18:19], v[18:19], v[58:59]
	;; [unrolled: 1-line block ×3, first 2 shown]
	v_fma_f64 v[50:51], v[28:29], v[60:61], -v[30:31]
	v_fmac_f64_e32 v[74:75], v[16:17], v[58:59]
	v_fma_f64 v[58:59], v[20:21], v[94:95], -v[22:23]
	v_fma_f64 v[60:61], v[12:13], v[102:103], -v[14:15]
	v_add_f64 v[94:95], v[62:63], -v[44:45]
	v_add_f64 v[104:105], v[84:85], v[80:81]
	v_mul_f64 v[10:11], v[108:109], s[0:1]
	v_fma_f64 v[4:5], s[12:13], v[92:93], v[8:9]
	v_mul_f64 v[38:39], v[38:39], v[100:101]
	v_fmac_f64_e32 v[78:79], v[20:21], v[96:97]
	v_fmac_f64_e32 v[76:77], v[36:37], v[100:101]
	v_add_f64 v[96:97], v[60:61], -v[40:41]
	v_mul_f64 v[12:13], v[104:105], s[10:11]
	v_fma_f64 v[6:7], s[8:9], v[94:95], v[10:11]
	v_add_f64 v[4:5], v[2:3], v[4:5]
	v_fmac_f64_e32 v[68:69], v[24:25], v[54:55]
	v_fma_f64 v[54:55], v[16:17], v[56:57], -v[18:19]
	v_fma_f64 v[56:57], v[36:37], v[98:99], -v[38:39]
	v_fma_f64 v[14:15], s[14:15], v[96:97], v[12:13]
	v_add_f64 v[4:5], v[6:7], v[4:5]
	v_add_f64 v[112:113], v[78:79], v[76:77]
	v_add_f64 v[4:5], v[14:15], v[4:5]
	v_mul_f64 v[14:15], v[112:113], s[18:19]
	v_add_f64 v[98:99], v[58:59], -v[56:57]
	v_add_f64 v[116:117], v[74:75], v[72:73]
	v_fma_f64 v[6:7], s[22:23], v[98:99], v[14:15]
	v_mul_f64 v[16:17], v[116:117], s[20:21]
	v_add_f64 v[100:101], v[54:55], -v[52:53]
	v_add_f64 v[124:125], v[88:89], -v[42:43]
	v_add_f64 v[4:5], v[6:7], v[4:5]
	v_fma_f64 v[6:7], s[24:25], v[100:101], v[16:17]
	v_add_f64 v[102:103], v[90:91], v[48:49]
	v_mul_f64 v[18:19], v[124:125], s[26:27]
	v_add_f64 v[128:129], v[86:87], -v[82:83]
	v_add_f64 v[4:5], v[6:7], v[4:5]
	v_fma_f64 v[6:7], s[2:3], v[102:103], v[18:19]
	v_add_f64 v[110:111], v[62:63], v[44:45]
	v_mul_f64 v[20:21], v[128:129], s[38:39]
	v_add_f64 v[6:7], v[0:1], v[6:7]
	v_fma_f64 v[22:23], s[0:1], v[110:111], v[20:21]
	v_add_f64 v[126:127], v[84:85], -v[80:81]
	v_fmac_f64_e32 v[8:9], s[26:27], v[92:93]
	v_add_f64 v[6:7], v[22:23], v[6:7]
	v_add_f64 v[114:115], v[60:61], v[40:41]
	v_mul_f64 v[22:23], v[126:127], s[28:29]
	v_fmac_f64_e32 v[10:11], s[38:39], v[94:95]
	v_add_f64 v[8:9], v[2:3], v[8:9]
	v_fma_f64 v[24:25], s[10:11], v[114:115], v[22:23]
	v_add_f64 v[132:133], v[78:79], -v[76:77]
	v_add_f64 v[8:9], v[10:11], v[8:9]
	v_fmac_f64_e32 v[12:13], s[28:29], v[96:97]
	v_add_f64 v[6:7], v[24:25], v[6:7]
	v_add_f64 v[118:119], v[58:59], v[56:57]
	v_mul_f64 v[24:25], v[132:133], s[40:41]
	v_add_f64 v[8:9], v[12:13], v[8:9]
	v_fma_f64 v[12:13], v[102:103], s[2:3], -v[18:19]
	v_fma_f64 v[26:27], s[18:19], v[118:119], v[24:25]
	v_add_f64 v[134:135], v[74:75], -v[72:73]
	v_fma_f64 v[10:11], v[110:111], s[0:1], -v[20:21]
	v_add_f64 v[12:13], v[0:1], v[12:13]
	v_add_f64 v[6:7], v[26:27], v[6:7]
	;; [unrolled: 1-line block ×3, first 2 shown]
	v_mul_f64 v[26:27], v[134:135], s[34:35]
	v_add_f64 v[136:137], v[68:69], v[70:71]
	v_fmac_f64_e32 v[14:15], s[40:41], v[98:99]
	v_add_f64 v[10:11], v[10:11], v[12:13]
	v_fma_f64 v[12:13], v[114:115], s[10:11], -v[22:23]
	v_fma_f64 v[28:29], s[20:21], v[120:121], v[26:27]
	v_mul_f64 v[30:31], v[136:137], s[30:31]
	v_add_f64 v[130:131], v[46:47], -v[50:51]
	v_add_f64 v[138:139], v[68:69], -v[70:71]
	v_add_f64 v[8:9], v[14:15], v[8:9]
	v_fmac_f64_e32 v[16:17], s[34:35], v[100:101]
	v_add_f64 v[10:11], v[12:13], v[10:11]
	v_fma_f64 v[12:13], v[118:119], s[18:19], -v[24:25]
	v_add_f64 v[28:29], v[28:29], v[6:7]
	v_fma_f64 v[6:7], s[36:37], v[130:131], v[30:31]
	v_add_f64 v[122:123], v[46:47], v[50:51]
	v_mul_f64 v[32:33], v[138:139], s[42:43]
	v_add_f64 v[8:9], v[16:17], v[8:9]
	v_add_f64 v[10:11], v[12:13], v[10:11]
	v_fma_f64 v[12:13], v[120:121], s[20:21], -v[26:27]
	v_fmac_f64_e32 v[30:31], s[42:43], v[130:131]
	v_add_f64 v[12:13], v[12:13], v[10:11]
	v_add_f64 v[10:11], v[30:31], v[8:9]
	v_fma_f64 v[8:9], v[122:123], s[30:31], -v[32:33]
	v_mul_f64 v[16:17], v[106:107], s[10:11]
	v_add_f64 v[8:9], v[8:9], v[12:13]
	v_fma_f64 v[12:13], s[14:15], v[92:93], v[16:17]
	v_mul_f64 v[18:19], v[108:109], s[30:31]
	v_add_f64 v[12:13], v[2:3], v[12:13]
	v_fma_f64 v[14:15], s[36:37], v[94:95], v[18:19]
	v_mul_f64 v[20:21], v[104:105], s[18:19]
	v_add_f64 v[12:13], v[14:15], v[12:13]
	v_fma_f64 v[14:15], s[40:41], v[96:97], v[20:21]
	v_mul_f64 v[22:23], v[112:113], s[2:3]
	v_add_f64 v[12:13], v[14:15], v[12:13]
	v_fma_f64 v[14:15], s[26:27], v[98:99], v[22:23]
	v_mul_f64 v[24:25], v[116:117], s[0:1]
	v_add_f64 v[6:7], v[6:7], v[4:5]
	v_fma_f64 v[4:5], s[30:31], v[122:123], v[32:33]
	v_add_f64 v[12:13], v[14:15], v[12:13]
	v_fma_f64 v[14:15], s[8:9], v[100:101], v[24:25]
	v_mul_f64 v[26:27], v[124:125], s[28:29]
	v_add_f64 v[4:5], v[4:5], v[28:29]
	v_add_f64 v[12:13], v[14:15], v[12:13]
	v_fma_f64 v[14:15], s[10:11], v[102:103], v[26:27]
	v_mul_f64 v[28:29], v[128:129], s[42:43]
	v_add_f64 v[14:15], v[0:1], v[14:15]
	v_fma_f64 v[30:31], s[30:31], v[110:111], v[28:29]
	v_fmac_f64_e32 v[16:17], s[28:29], v[92:93]
	v_add_f64 v[14:15], v[30:31], v[14:15]
	v_mul_f64 v[30:31], v[126:127], s[22:23]
	v_fmac_f64_e32 v[18:19], s[42:43], v[94:95]
	v_add_f64 v[16:17], v[2:3], v[16:17]
	v_fma_f64 v[32:33], s[18:19], v[114:115], v[30:31]
	v_add_f64 v[16:17], v[18:19], v[16:17]
	v_fmac_f64_e32 v[20:21], s[22:23], v[96:97]
	v_add_f64 v[14:15], v[32:33], v[14:15]
	v_mul_f64 v[32:33], v[132:133], s[12:13]
	v_add_f64 v[16:17], v[20:21], v[16:17]
	v_fma_f64 v[20:21], v[102:103], s[10:11], -v[26:27]
	v_fma_f64 v[34:35], s[2:3], v[118:119], v[32:33]
	v_fma_f64 v[18:19], v[110:111], s[30:31], -v[28:29]
	v_add_f64 v[20:21], v[0:1], v[20:21]
	v_add_f64 v[14:15], v[34:35], v[14:15]
	v_mul_f64 v[34:35], v[134:135], s[38:39]
	v_fmac_f64_e32 v[22:23], s[12:13], v[98:99]
	v_add_f64 v[18:19], v[18:19], v[20:21]
	v_fma_f64 v[20:21], v[114:115], s[18:19], -v[30:31]
	v_fma_f64 v[36:37], s[0:1], v[120:121], v[34:35]
	v_mul_f64 v[38:39], v[136:137], s[20:21]
	v_add_f64 v[16:17], v[22:23], v[16:17]
	v_fmac_f64_e32 v[24:25], s[38:39], v[100:101]
	v_add_f64 v[18:19], v[20:21], v[18:19]
	v_fma_f64 v[20:21], v[118:119], s[2:3], -v[32:33]
	v_add_f64 v[36:37], v[36:37], v[14:15]
	v_fma_f64 v[14:15], s[24:25], v[130:131], v[38:39]
	v_mul_f64 v[142:143], v[138:139], s[34:35]
	v_add_f64 v[16:17], v[24:25], v[16:17]
	v_add_f64 v[18:19], v[20:21], v[18:19]
	v_fma_f64 v[20:21], v[120:121], s[0:1], -v[34:35]
	v_fmac_f64_e32 v[38:39], s[34:35], v[130:131]
	v_add_f64 v[20:21], v[20:21], v[18:19]
	v_add_f64 v[18:19], v[38:39], v[16:17]
	v_fma_f64 v[16:17], v[122:123], s[20:21], -v[142:143]
	v_mul_f64 v[24:25], v[106:107], s[20:21]
	v_add_f64 v[16:17], v[16:17], v[20:21]
	v_fma_f64 v[20:21], s[24:25], v[92:93], v[24:25]
	v_mul_f64 v[26:27], v[108:109], s[10:11]
	v_add_f64 v[20:21], v[2:3], v[20:21]
	v_fma_f64 v[22:23], s[28:29], v[94:95], v[26:27]
	v_mul_f64 v[28:29], v[104:105], s[0:1]
	v_add_f64 v[20:21], v[22:23], v[20:21]
	v_fma_f64 v[22:23], s[8:9], v[96:97], v[28:29]
	v_mul_f64 v[30:31], v[112:113], s[30:31]
	v_add_f64 v[20:21], v[22:23], v[20:21]
	v_fma_f64 v[22:23], s[42:43], v[98:99], v[30:31]
	v_mul_f64 v[32:33], v[116:117], s[2:3]
	v_add_f64 v[14:15], v[14:15], v[12:13]
	v_fma_f64 v[12:13], s[20:21], v[122:123], v[142:143]
	v_add_f64 v[20:21], v[22:23], v[20:21]
	v_fma_f64 v[22:23], s[26:27], v[100:101], v[32:33]
	v_mul_f64 v[34:35], v[124:125], s[34:35]
	v_add_f64 v[12:13], v[12:13], v[36:37]
	v_add_f64 v[20:21], v[22:23], v[20:21]
	v_fma_f64 v[22:23], s[20:21], v[102:103], v[34:35]
	v_mul_f64 v[36:37], v[128:129], s[14:15]
	v_add_f64 v[22:23], v[0:1], v[22:23]
	v_fma_f64 v[38:39], s[10:11], v[110:111], v[36:37]
	v_fmac_f64_e32 v[24:25], s[34:35], v[92:93]
	v_add_f64 v[22:23], v[38:39], v[22:23]
	v_mul_f64 v[38:39], v[126:127], s[38:39]
	v_fmac_f64_e32 v[26:27], s[14:15], v[94:95]
	v_add_f64 v[24:25], v[2:3], v[24:25]
	v_fma_f64 v[142:143], s[0:1], v[114:115], v[38:39]
	v_add_f64 v[24:25], v[26:27], v[24:25]
	v_fmac_f64_e32 v[28:29], s[38:39], v[96:97]
	v_add_f64 v[22:23], v[142:143], v[22:23]
	v_mul_f64 v[142:143], v[132:133], s[36:37]
	v_add_f64 v[24:25], v[28:29], v[24:25]
	v_fma_f64 v[28:29], v[102:103], s[20:21], -v[34:35]
	v_fma_f64 v[144:145], s[30:31], v[118:119], v[142:143]
	v_fma_f64 v[26:27], v[110:111], s[10:11], -v[36:37]
	v_add_f64 v[28:29], v[0:1], v[28:29]
	v_add_f64 v[22:23], v[144:145], v[22:23]
	v_mul_f64 v[144:145], v[134:135], s[12:13]
	v_fmac_f64_e32 v[30:31], s[36:37], v[98:99]
	v_add_f64 v[26:27], v[26:27], v[28:29]
	v_fma_f64 v[28:29], v[114:115], s[0:1], -v[38:39]
	v_fma_f64 v[146:147], s[2:3], v[120:121], v[144:145]
	v_mul_f64 v[148:149], v[136:137], s[18:19]
	v_add_f64 v[24:25], v[30:31], v[24:25]
	v_fmac_f64_e32 v[32:33], s[12:13], v[100:101]
	v_add_f64 v[26:27], v[28:29], v[26:27]
	v_fma_f64 v[28:29], v[118:119], s[30:31], -v[142:143]
	v_add_f64 v[146:147], v[146:147], v[22:23]
	v_fma_f64 v[22:23], s[22:23], v[130:131], v[148:149]
	;; [unrolled: 60-line block ×4, first 2 shown]
	v_mul_f64 v[166:167], v[138:139], s[38:39]
	v_add_f64 v[142:143], v[150:151], v[142:143]
	v_add_f64 v[144:145], v[146:147], v[144:145]
	v_fma_f64 v[146:147], v[120:121], s[30:31], -v[160:161]
	v_fmac_f64_e32 v[164:165], s[38:39], v[130:131]
	v_add_f64 v[146:147], v[146:147], v[144:145]
	v_add_f64 v[144:145], v[164:165], v[142:143]
	v_fma_f64 v[142:143], v[122:123], s[0:1], -v[166:167]
	v_add_f64 v[142:143], v[142:143], v[146:147]
	v_mul_f64 v[146:147], v[106:107], s[0:1]
	v_mul_f64 v[108:109], v[108:109], s[18:19]
	v_fma_f64 v[106:107], s[38:39], v[92:93], v[146:147]
	v_add_f64 v[106:107], v[2:3], v[106:107]
	v_fma_f64 v[148:149], s[40:41], v[94:95], v[108:109]
	v_add_f64 v[106:107], v[148:149], v[106:107]
	v_mul_f64 v[148:149], v[104:105], s[30:31]
	v_fma_f64 v[104:105], s[42:43], v[96:97], v[148:149]
	v_mul_f64 v[112:113], v[112:113], s[20:21]
	v_add_f64 v[104:105], v[104:105], v[106:107]
	v_fma_f64 v[106:107], s[24:25], v[98:99], v[112:113]
	v_mul_f64 v[116:117], v[116:117], s[10:11]
	v_add_f64 v[104:105], v[106:107], v[104:105]
	v_fma_f64 v[106:107], s[14:15], v[100:101], v[116:117]
	v_mul_f64 v[124:125], v[124:125], s[8:9]
	v_fmac_f64_e32 v[146:147], s[8:9], v[92:93]
	v_add_f64 v[104:105], v[106:107], v[104:105]
	v_fma_f64 v[106:107], s[0:1], v[102:103], v[124:125]
	v_add_f64 v[92:93], v[2:3], v[146:147]
	v_fma_f64 v[102:103], v[102:103], s[0:1], -v[124:125]
	v_add_f64 v[2:3], v[2:3], v[88:89]
	v_add_f64 v[106:107], v[0:1], v[106:107]
	;; [unrolled: 1-line block ×22, first 2 shown]
	v_fma_f64 v[32:33], s[0:1], v[122:123], v[166:167]
	v_add_f64 v[2:3], v[82:83], v[2:3]
	v_add_f64 v[0:1], v[40:41], v[0:1]
	v_mad_u64_u32 v[40:41], s[0:1], s16, v140, 0
	v_mul_lo_u32 v88, s5, v66
	v_mul_lo_u32 v89, s4, v67
	v_mad_u64_u32 v[66:67], s[0:1], s4, v66, 0
	v_add_f64 v[2:3], v[42:43], v[2:3]
	v_mov_b32_e32 v42, v41
	v_add3_u32 v67, v67, v89, v88
	v_mad_u64_u32 v[42:43], s[0:1], s17, v140, v[42:43]
	v_mov_b32_e32 v41, v42
	v_lshl_add_u64 v[42:43], v[66:67], 4, s[6:7]
	v_add_f64 v[0:1], v[44:45], v[0:1]
	v_lshl_add_u64 v[42:43], v[64:65], 4, v[42:43]
	v_mul_f64 v[128:129], v[128:129], s[22:23]
	v_fmac_f64_e32 v[108:109], s[22:23], v[94:95]
	v_add_f64 v[0:1], v[48:49], v[0:1]
	v_lshl_add_u64 v[40:41], v[40:41], 4, v[42:43]
	v_fma_f64 v[150:151], s[18:19], v[110:111], v[128:129]
	v_mul_f64 v[126:127], v[126:127], s[36:37]
	v_add_f64 v[92:93], v[108:109], v[92:93]
	v_fma_f64 v[108:109], v[110:111], s[18:19], -v[128:129]
	global_store_dwordx4 v[40:41], v[0:3], off
	v_add_f64 v[106:107], v[150:151], v[106:107]
	v_fma_f64 v[150:151], s[30:31], v[114:115], v[126:127]
	v_add_u32_e32 v3, 0x64, v140
	v_mul_f64 v[132:133], v[132:133], s[34:35]
	v_fmac_f64_e32 v[116:117], s[28:29], v[100:101]
	v_fmac_f64_e32 v[148:149], s[36:37], v[96:97]
	v_fma_f64 v[100:101], v[114:115], s[30:31], -v[126:127]
	v_add_f64 v[102:103], v[108:109], v[102:103]
	v_mad_u64_u32 v[0:1], s[0:1], s16, v3, 0
	v_add_f64 v[106:107], v[150:151], v[106:107]
	v_fma_f64 v[150:151], s[20:21], v[118:119], v[132:133]
	v_mul_f64 v[134:135], v[134:135], s[28:29]
	v_fmac_f64_e32 v[112:113], s[34:35], v[98:99]
	v_add_f64 v[92:93], v[148:149], v[92:93]
	v_fma_f64 v[98:99], v[118:119], s[20:21], -v[132:133]
	v_add_f64 v[100:101], v[100:101], v[102:103]
	v_mov_b32_e32 v2, v1
	v_add_f64 v[106:107], v[150:151], v[106:107]
	v_fma_f64 v[150:151], s[10:11], v[120:121], v[134:135]
	v_mul_f64 v[136:137], v[136:137], s[2:3]
	v_mul_f64 v[138:139], v[138:139], s[26:27]
	v_add_f64 v[92:93], v[112:113], v[92:93]
	v_fma_f64 v[94:95], v[120:121], s[10:11], -v[134:135]
	v_add_f64 v[98:99], v[98:99], v[100:101]
	v_mad_u64_u32 v[2:3], s[0:1], s17, v3, v[2:3]
	v_add_f64 v[150:151], v[150:151], v[106:107]
	v_fma_f64 v[106:107], s[12:13], v[130:131], v[136:137]
	v_fmac_f64_e32 v[136:137], s[26:27], v[130:131]
	v_add_f64 v[92:93], v[116:117], v[92:93]
	v_fma_f64 v[96:97], v[122:123], s[2:3], -v[138:139]
	v_add_f64 v[98:99], v[94:95], v[98:99]
	v_mov_b32_e32 v1, v2
	v_add_f64 v[94:95], v[136:137], v[92:93]
	v_add_f64 v[92:93], v[96:97], v[98:99]
	v_lshl_add_u64 v[0:1], v[0:1], 4, v[42:43]
	v_add_u32_e32 v3, 0xc8, v140
	global_store_dwordx4 v[0:1], v[92:95], off
	v_mad_u64_u32 v[0:1], s[0:1], s16, v3, 0
	v_mov_b32_e32 v2, v1
	v_mad_u64_u32 v[2:3], s[0:1], s17, v3, v[2:3]
	v_mov_b32_e32 v1, v2
	v_lshl_add_u64 v[0:1], v[0:1], 4, v[42:43]
	v_add_u32_e32 v3, 0x12c, v140
	global_store_dwordx4 v[0:1], v[142:145], off
	v_mad_u64_u32 v[0:1], s[0:1], s16, v3, 0
	v_mov_b32_e32 v2, v1
	v_mad_u64_u32 v[2:3], s[0:1], s17, v3, v[2:3]
	v_mov_b32_e32 v1, v2
	;; [unrolled: 7-line block ×10, first 2 shown]
	v_add_f64 v[32:33], v[32:33], v[162:163]
	v_lshl_add_u64 v[0:1], v[0:1], 4, v[42:43]
	v_add_u32_e32 v3, 0x4b0, v140
	global_store_dwordx4 v[0:1], v[32:35], off
	v_mad_u64_u32 v[0:1], s[0:1], s16, v3, 0
	v_mov_b32_e32 v2, v1
	v_mad_u64_u32 v[2:3], s[0:1], s17, v3, v[2:3]
	v_add_f64 v[106:107], v[106:107], v[104:105]
	v_fma_f64 v[104:105], s[2:3], v[122:123], v[138:139]
	v_mov_b32_e32 v1, v2
	v_add_f64 v[104:105], v[104:105], v[150:151]
	v_lshl_add_u64 v[0:1], v[0:1], 4, v[42:43]
	global_store_dwordx4 v[0:1], v[104:107], off
.LBB0_17:
	s_endpgm
	.section	.rodata,"a",@progbits
	.p2align	6, 0x0
	.amdhsa_kernel fft_rtc_fwd_len1300_factors_10_10_13_wgs_130_tpt_130_dp_op_CI_CI_sbrr_dirReg
		.amdhsa_group_segment_fixed_size 0
		.amdhsa_private_segment_fixed_size 0
		.amdhsa_kernarg_size 104
		.amdhsa_user_sgpr_count 2
		.amdhsa_user_sgpr_dispatch_ptr 0
		.amdhsa_user_sgpr_queue_ptr 0
		.amdhsa_user_sgpr_kernarg_segment_ptr 1
		.amdhsa_user_sgpr_dispatch_id 0
		.amdhsa_user_sgpr_kernarg_preload_length 0
		.amdhsa_user_sgpr_kernarg_preload_offset 0
		.amdhsa_user_sgpr_private_segment_size 0
		.amdhsa_uses_dynamic_stack 0
		.amdhsa_enable_private_segment 0
		.amdhsa_system_sgpr_workgroup_id_x 1
		.amdhsa_system_sgpr_workgroup_id_y 0
		.amdhsa_system_sgpr_workgroup_id_z 0
		.amdhsa_system_sgpr_workgroup_info 0
		.amdhsa_system_vgpr_workitem_id 0
		.amdhsa_next_free_vgpr 168
		.amdhsa_next_free_sgpr 44
		.amdhsa_accum_offset 168
		.amdhsa_reserve_vcc 1
		.amdhsa_float_round_mode_32 0
		.amdhsa_float_round_mode_16_64 0
		.amdhsa_float_denorm_mode_32 3
		.amdhsa_float_denorm_mode_16_64 3
		.amdhsa_dx10_clamp 1
		.amdhsa_ieee_mode 1
		.amdhsa_fp16_overflow 0
		.amdhsa_tg_split 0
		.amdhsa_exception_fp_ieee_invalid_op 0
		.amdhsa_exception_fp_denorm_src 0
		.amdhsa_exception_fp_ieee_div_zero 0
		.amdhsa_exception_fp_ieee_overflow 0
		.amdhsa_exception_fp_ieee_underflow 0
		.amdhsa_exception_fp_ieee_inexact 0
		.amdhsa_exception_int_div_zero 0
	.end_amdhsa_kernel
	.text
.Lfunc_end0:
	.size	fft_rtc_fwd_len1300_factors_10_10_13_wgs_130_tpt_130_dp_op_CI_CI_sbrr_dirReg, .Lfunc_end0-fft_rtc_fwd_len1300_factors_10_10_13_wgs_130_tpt_130_dp_op_CI_CI_sbrr_dirReg
                                        ; -- End function
	.section	.AMDGPU.csdata,"",@progbits
; Kernel info:
; codeLenInByte = 9340
; NumSgprs: 50
; NumVgprs: 168
; NumAgprs: 0
; TotalNumVgprs: 168
; ScratchSize: 0
; MemoryBound: 1
; FloatMode: 240
; IeeeMode: 1
; LDSByteSize: 0 bytes/workgroup (compile time only)
; SGPRBlocks: 6
; VGPRBlocks: 20
; NumSGPRsForWavesPerEU: 50
; NumVGPRsForWavesPerEU: 168
; AccumOffset: 168
; Occupancy: 3
; WaveLimiterHint : 1
; COMPUTE_PGM_RSRC2:SCRATCH_EN: 0
; COMPUTE_PGM_RSRC2:USER_SGPR: 2
; COMPUTE_PGM_RSRC2:TRAP_HANDLER: 0
; COMPUTE_PGM_RSRC2:TGID_X_EN: 1
; COMPUTE_PGM_RSRC2:TGID_Y_EN: 0
; COMPUTE_PGM_RSRC2:TGID_Z_EN: 0
; COMPUTE_PGM_RSRC2:TIDIG_COMP_CNT: 0
; COMPUTE_PGM_RSRC3_GFX90A:ACCUM_OFFSET: 41
; COMPUTE_PGM_RSRC3_GFX90A:TG_SPLIT: 0
	.text
	.p2alignl 6, 3212836864
	.fill 256, 4, 3212836864
	.type	__hip_cuid_223da6d68c24c57e,@object ; @__hip_cuid_223da6d68c24c57e
	.section	.bss,"aw",@nobits
	.globl	__hip_cuid_223da6d68c24c57e
__hip_cuid_223da6d68c24c57e:
	.byte	0                               ; 0x0
	.size	__hip_cuid_223da6d68c24c57e, 1

	.ident	"AMD clang version 19.0.0git (https://github.com/RadeonOpenCompute/llvm-project roc-6.4.0 25133 c7fe45cf4b819c5991fe208aaa96edf142730f1d)"
	.section	".note.GNU-stack","",@progbits
	.addrsig
	.addrsig_sym __hip_cuid_223da6d68c24c57e
	.amdgpu_metadata
---
amdhsa.kernels:
  - .agpr_count:     0
    .args:
      - .actual_access:  read_only
        .address_space:  global
        .offset:         0
        .size:           8
        .value_kind:     global_buffer
      - .offset:         8
        .size:           8
        .value_kind:     by_value
      - .actual_access:  read_only
        .address_space:  global
        .offset:         16
        .size:           8
        .value_kind:     global_buffer
      - .actual_access:  read_only
        .address_space:  global
        .offset:         24
        .size:           8
        .value_kind:     global_buffer
      - .actual_access:  read_only
        .address_space:  global
        .offset:         32
        .size:           8
        .value_kind:     global_buffer
      - .offset:         40
        .size:           8
        .value_kind:     by_value
      - .actual_access:  read_only
        .address_space:  global
        .offset:         48
        .size:           8
        .value_kind:     global_buffer
      - .actual_access:  read_only
        .address_space:  global
        .offset:         56
        .size:           8
        .value_kind:     global_buffer
      - .offset:         64
        .size:           4
        .value_kind:     by_value
      - .actual_access:  read_only
        .address_space:  global
        .offset:         72
        .size:           8
        .value_kind:     global_buffer
      - .actual_access:  read_only
        .address_space:  global
        .offset:         80
        .size:           8
        .value_kind:     global_buffer
      - .actual_access:  read_only
        .address_space:  global
        .offset:         88
        .size:           8
        .value_kind:     global_buffer
      - .actual_access:  write_only
        .address_space:  global
        .offset:         96
        .size:           8
        .value_kind:     global_buffer
    .group_segment_fixed_size: 0
    .kernarg_segment_align: 8
    .kernarg_segment_size: 104
    .language:       OpenCL C
    .language_version:
      - 2
      - 0
    .max_flat_workgroup_size: 130
    .name:           fft_rtc_fwd_len1300_factors_10_10_13_wgs_130_tpt_130_dp_op_CI_CI_sbrr_dirReg
    .private_segment_fixed_size: 0
    .sgpr_count:     50
    .sgpr_spill_count: 0
    .symbol:         fft_rtc_fwd_len1300_factors_10_10_13_wgs_130_tpt_130_dp_op_CI_CI_sbrr_dirReg.kd
    .uniform_work_group_size: 1
    .uses_dynamic_stack: false
    .vgpr_count:     168
    .vgpr_spill_count: 0
    .wavefront_size: 64
amdhsa.target:   amdgcn-amd-amdhsa--gfx950
amdhsa.version:
  - 1
  - 2
...

	.end_amdgpu_metadata
